;; amdgpu-corpus repo=ROCm/rocFFT kind=compiled arch=gfx1201 opt=O3
	.text
	.amdgcn_target "amdgcn-amd-amdhsa--gfx1201"
	.amdhsa_code_object_version 6
	.protected	fft_rtc_fwd_len616_factors_11_7_8_wgs_88_tpt_88_dp_op_CI_CI_sbrr_dirReg ; -- Begin function fft_rtc_fwd_len616_factors_11_7_8_wgs_88_tpt_88_dp_op_CI_CI_sbrr_dirReg
	.globl	fft_rtc_fwd_len616_factors_11_7_8_wgs_88_tpt_88_dp_op_CI_CI_sbrr_dirReg
	.p2align	8
	.type	fft_rtc_fwd_len616_factors_11_7_8_wgs_88_tpt_88_dp_op_CI_CI_sbrr_dirReg,@function
fft_rtc_fwd_len616_factors_11_7_8_wgs_88_tpt_88_dp_op_CI_CI_sbrr_dirReg: ; @fft_rtc_fwd_len616_factors_11_7_8_wgs_88_tpt_88_dp_op_CI_CI_sbrr_dirReg
; %bb.0:
	s_clause 0x2
	s_load_b128 s[12:15], s[0:1], 0x18
	s_load_b128 s[8:11], s[0:1], 0x0
	;; [unrolled: 1-line block ×3, first 2 shown]
	v_mul_u32_u24_e32 v1, 0x2e9, v0
	v_mov_b32_e32 v3, 0
	s_wait_kmcnt 0x0
	s_load_b64 s[18:19], s[12:13], 0x0
	s_load_b64 s[16:17], s[14:15], 0x0
	v_lshrrev_b32_e32 v1, 16, v1
	v_cmp_lt_u64_e64 s2, s[10:11], 2
	s_delay_alu instid0(VALU_DEP_2)
	v_add_nc_u32_e32 v5, ttmp9, v1
	v_mov_b32_e32 v1, 0
	v_mov_b32_e32 v2, 0
	;; [unrolled: 1-line block ×3, first 2 shown]
	s_and_b32 vcc_lo, exec_lo, s2
	s_cbranch_vccnz .LBB0_8
; %bb.1:
	s_load_b64 s[2:3], s[0:1], 0x10
	v_mov_b32_e32 v1, 0
	v_mov_b32_e32 v2, 0
	s_add_nc_u64 s[20:21], s[14:15], 8
	s_add_nc_u64 s[22:23], s[12:13], 8
	s_mov_b64 s[24:25], 1
	s_delay_alu instid0(VALU_DEP_1)
	v_dual_mov_b32 v49, v2 :: v_dual_mov_b32 v48, v1
	s_wait_kmcnt 0x0
	s_add_nc_u64 s[26:27], s[2:3], 8
	s_mov_b32 s3, 0
.LBB0_2:                                ; =>This Inner Loop Header: Depth=1
	s_load_b64 s[28:29], s[26:27], 0x0
                                        ; implicit-def: $vgpr50_vgpr51
	s_mov_b32 s2, exec_lo
	s_wait_kmcnt 0x0
	v_or_b32_e32 v4, s29, v6
	s_delay_alu instid0(VALU_DEP_1)
	v_cmpx_ne_u64_e32 0, v[3:4]
	s_wait_alu 0xfffe
	s_xor_b32 s30, exec_lo, s2
	s_cbranch_execz .LBB0_4
; %bb.3:                                ;   in Loop: Header=BB0_2 Depth=1
	s_cvt_f32_u32 s2, s28
	s_cvt_f32_u32 s31, s29
	s_sub_nc_u64 s[36:37], 0, s[28:29]
	s_wait_alu 0xfffe
	s_delay_alu instid0(SALU_CYCLE_1) | instskip(SKIP_1) | instid1(SALU_CYCLE_2)
	s_fmamk_f32 s2, s31, 0x4f800000, s2
	s_wait_alu 0xfffe
	v_s_rcp_f32 s2, s2
	s_delay_alu instid0(TRANS32_DEP_1) | instskip(SKIP_1) | instid1(SALU_CYCLE_2)
	s_mul_f32 s2, s2, 0x5f7ffffc
	s_wait_alu 0xfffe
	s_mul_f32 s31, s2, 0x2f800000
	s_wait_alu 0xfffe
	s_delay_alu instid0(SALU_CYCLE_2) | instskip(SKIP_1) | instid1(SALU_CYCLE_2)
	s_trunc_f32 s31, s31
	s_wait_alu 0xfffe
	s_fmamk_f32 s2, s31, 0xcf800000, s2
	s_cvt_u32_f32 s35, s31
	s_wait_alu 0xfffe
	s_delay_alu instid0(SALU_CYCLE_1) | instskip(SKIP_1) | instid1(SALU_CYCLE_2)
	s_cvt_u32_f32 s34, s2
	s_wait_alu 0xfffe
	s_mul_u64 s[38:39], s[36:37], s[34:35]
	s_wait_alu 0xfffe
	s_mul_hi_u32 s41, s34, s39
	s_mul_i32 s40, s34, s39
	s_mul_hi_u32 s2, s34, s38
	s_mul_i32 s33, s35, s38
	s_wait_alu 0xfffe
	s_add_nc_u64 s[40:41], s[2:3], s[40:41]
	s_mul_hi_u32 s31, s35, s38
	s_mul_hi_u32 s42, s35, s39
	s_add_co_u32 s2, s40, s33
	s_wait_alu 0xfffe
	s_add_co_ci_u32 s2, s41, s31
	s_mul_i32 s38, s35, s39
	s_add_co_ci_u32 s39, s42, 0
	s_wait_alu 0xfffe
	s_add_nc_u64 s[38:39], s[2:3], s[38:39]
	s_wait_alu 0xfffe
	v_add_co_u32 v4, s2, s34, s38
	s_delay_alu instid0(VALU_DEP_1) | instskip(SKIP_1) | instid1(VALU_DEP_1)
	s_cmp_lg_u32 s2, 0
	s_add_co_ci_u32 s35, s35, s39
	v_readfirstlane_b32 s34, v4
	s_wait_alu 0xfffe
	s_delay_alu instid0(VALU_DEP_1)
	s_mul_u64 s[36:37], s[36:37], s[34:35]
	s_wait_alu 0xfffe
	s_mul_hi_u32 s39, s34, s37
	s_mul_i32 s38, s34, s37
	s_mul_hi_u32 s2, s34, s36
	s_mul_i32 s33, s35, s36
	s_wait_alu 0xfffe
	s_add_nc_u64 s[38:39], s[2:3], s[38:39]
	s_mul_hi_u32 s31, s35, s36
	s_mul_hi_u32 s34, s35, s37
	s_wait_alu 0xfffe
	s_add_co_u32 s2, s38, s33
	s_add_co_ci_u32 s2, s39, s31
	s_mul_i32 s36, s35, s37
	s_add_co_ci_u32 s37, s34, 0
	s_wait_alu 0xfffe
	s_add_nc_u64 s[36:37], s[2:3], s[36:37]
	s_wait_alu 0xfffe
	v_add_co_u32 v4, s2, v4, s36
	s_delay_alu instid0(VALU_DEP_1) | instskip(SKIP_1) | instid1(VALU_DEP_1)
	s_cmp_lg_u32 s2, 0
	s_add_co_ci_u32 s2, s35, s37
	v_mul_hi_u32 v13, v5, v4
	s_wait_alu 0xfffe
	v_mad_co_u64_u32 v[7:8], null, v5, s2, 0
	v_mad_co_u64_u32 v[9:10], null, v6, v4, 0
	;; [unrolled: 1-line block ×3, first 2 shown]
	s_delay_alu instid0(VALU_DEP_3) | instskip(SKIP_1) | instid1(VALU_DEP_4)
	v_add_co_u32 v4, vcc_lo, v13, v7
	s_wait_alu 0xfffd
	v_add_co_ci_u32_e32 v7, vcc_lo, 0, v8, vcc_lo
	s_delay_alu instid0(VALU_DEP_2) | instskip(SKIP_1) | instid1(VALU_DEP_2)
	v_add_co_u32 v4, vcc_lo, v4, v9
	s_wait_alu 0xfffd
	v_add_co_ci_u32_e32 v4, vcc_lo, v7, v10, vcc_lo
	s_wait_alu 0xfffd
	v_add_co_ci_u32_e32 v7, vcc_lo, 0, v12, vcc_lo
	s_delay_alu instid0(VALU_DEP_2) | instskip(SKIP_1) | instid1(VALU_DEP_2)
	v_add_co_u32 v4, vcc_lo, v4, v11
	s_wait_alu 0xfffd
	v_add_co_ci_u32_e32 v9, vcc_lo, 0, v7, vcc_lo
	s_delay_alu instid0(VALU_DEP_2) | instskip(SKIP_1) | instid1(VALU_DEP_3)
	v_mul_lo_u32 v10, s29, v4
	v_mad_co_u64_u32 v[7:8], null, s28, v4, 0
	v_mul_lo_u32 v11, s28, v9
	s_delay_alu instid0(VALU_DEP_2) | instskip(NEXT) | instid1(VALU_DEP_2)
	v_sub_co_u32 v7, vcc_lo, v5, v7
	v_add3_u32 v8, v8, v11, v10
	s_delay_alu instid0(VALU_DEP_1) | instskip(SKIP_1) | instid1(VALU_DEP_1)
	v_sub_nc_u32_e32 v10, v6, v8
	s_wait_alu 0xfffd
	v_subrev_co_ci_u32_e64 v10, s2, s29, v10, vcc_lo
	v_add_co_u32 v11, s2, v4, 2
	s_wait_alu 0xf1ff
	v_add_co_ci_u32_e64 v12, s2, 0, v9, s2
	v_sub_co_u32 v13, s2, v7, s28
	v_sub_co_ci_u32_e32 v8, vcc_lo, v6, v8, vcc_lo
	s_wait_alu 0xf1ff
	v_subrev_co_ci_u32_e64 v10, s2, 0, v10, s2
	s_delay_alu instid0(VALU_DEP_3) | instskip(NEXT) | instid1(VALU_DEP_3)
	v_cmp_le_u32_e32 vcc_lo, s28, v13
	v_cmp_eq_u32_e64 s2, s29, v8
	s_wait_alu 0xfffd
	v_cndmask_b32_e64 v13, 0, -1, vcc_lo
	v_cmp_le_u32_e32 vcc_lo, s29, v10
	s_wait_alu 0xfffd
	v_cndmask_b32_e64 v14, 0, -1, vcc_lo
	v_cmp_le_u32_e32 vcc_lo, s28, v7
	;; [unrolled: 3-line block ×3, first 2 shown]
	s_wait_alu 0xfffd
	v_cndmask_b32_e64 v15, 0, -1, vcc_lo
	v_cmp_eq_u32_e32 vcc_lo, s29, v10
	s_wait_alu 0xf1ff
	s_delay_alu instid0(VALU_DEP_2)
	v_cndmask_b32_e64 v7, v15, v7, s2
	s_wait_alu 0xfffd
	v_cndmask_b32_e32 v10, v14, v13, vcc_lo
	v_add_co_u32 v13, vcc_lo, v4, 1
	s_wait_alu 0xfffd
	v_add_co_ci_u32_e32 v14, vcc_lo, 0, v9, vcc_lo
	s_delay_alu instid0(VALU_DEP_3) | instskip(SKIP_1) | instid1(VALU_DEP_2)
	v_cmp_ne_u32_e32 vcc_lo, 0, v10
	s_wait_alu 0xfffd
	v_cndmask_b32_e32 v8, v14, v12, vcc_lo
	v_cndmask_b32_e32 v10, v13, v11, vcc_lo
	v_cmp_ne_u32_e32 vcc_lo, 0, v7
	s_wait_alu 0xfffd
	s_delay_alu instid0(VALU_DEP_2)
	v_dual_cndmask_b32 v51, v9, v8 :: v_dual_cndmask_b32 v50, v4, v10
.LBB0_4:                                ;   in Loop: Header=BB0_2 Depth=1
	s_wait_alu 0xfffe
	s_and_not1_saveexec_b32 s2, s30
	s_cbranch_execz .LBB0_6
; %bb.5:                                ;   in Loop: Header=BB0_2 Depth=1
	v_cvt_f32_u32_e32 v4, s28
	s_sub_co_i32 s30, 0, s28
	v_mov_b32_e32 v51, v3
	s_delay_alu instid0(VALU_DEP_2) | instskip(NEXT) | instid1(TRANS32_DEP_1)
	v_rcp_iflag_f32_e32 v4, v4
	v_mul_f32_e32 v4, 0x4f7ffffe, v4
	s_delay_alu instid0(VALU_DEP_1) | instskip(SKIP_1) | instid1(VALU_DEP_1)
	v_cvt_u32_f32_e32 v4, v4
	s_wait_alu 0xfffe
	v_mul_lo_u32 v7, s30, v4
	s_delay_alu instid0(VALU_DEP_1) | instskip(NEXT) | instid1(VALU_DEP_1)
	v_mul_hi_u32 v7, v4, v7
	v_add_nc_u32_e32 v4, v4, v7
	s_delay_alu instid0(VALU_DEP_1) | instskip(NEXT) | instid1(VALU_DEP_1)
	v_mul_hi_u32 v4, v5, v4
	v_mul_lo_u32 v7, v4, s28
	v_add_nc_u32_e32 v8, 1, v4
	s_delay_alu instid0(VALU_DEP_2) | instskip(NEXT) | instid1(VALU_DEP_1)
	v_sub_nc_u32_e32 v7, v5, v7
	v_subrev_nc_u32_e32 v9, s28, v7
	v_cmp_le_u32_e32 vcc_lo, s28, v7
	s_wait_alu 0xfffd
	s_delay_alu instid0(VALU_DEP_2) | instskip(NEXT) | instid1(VALU_DEP_1)
	v_dual_cndmask_b32 v7, v7, v9 :: v_dual_cndmask_b32 v4, v4, v8
	v_cmp_le_u32_e32 vcc_lo, s28, v7
	s_delay_alu instid0(VALU_DEP_2) | instskip(SKIP_1) | instid1(VALU_DEP_1)
	v_add_nc_u32_e32 v8, 1, v4
	s_wait_alu 0xfffd
	v_cndmask_b32_e32 v50, v4, v8, vcc_lo
.LBB0_6:                                ;   in Loop: Header=BB0_2 Depth=1
	s_wait_alu 0xfffe
	s_or_b32 exec_lo, exec_lo, s2
	v_mul_lo_u32 v4, v51, s28
	s_delay_alu instid0(VALU_DEP_2)
	v_mul_lo_u32 v9, v50, s29
	s_load_b64 s[30:31], s[22:23], 0x0
	v_mad_co_u64_u32 v[7:8], null, v50, s28, 0
	s_load_b64 s[28:29], s[20:21], 0x0
	s_add_nc_u64 s[24:25], s[24:25], 1
	s_add_nc_u64 s[20:21], s[20:21], 8
	s_wait_alu 0xfffe
	v_cmp_ge_u64_e64 s2, s[24:25], s[10:11]
	s_add_nc_u64 s[22:23], s[22:23], 8
	s_add_nc_u64 s[26:27], s[26:27], 8
	v_add3_u32 v4, v8, v9, v4
	v_sub_co_u32 v5, vcc_lo, v5, v7
	s_wait_alu 0xfffd
	s_delay_alu instid0(VALU_DEP_2) | instskip(SKIP_2) | instid1(VALU_DEP_1)
	v_sub_co_ci_u32_e32 v4, vcc_lo, v6, v4, vcc_lo
	s_and_b32 vcc_lo, exec_lo, s2
	s_wait_kmcnt 0x0
	v_mul_lo_u32 v6, s30, v4
	v_mul_lo_u32 v7, s31, v5
	v_mad_co_u64_u32 v[1:2], null, s30, v5, v[1:2]
	v_mul_lo_u32 v4, s28, v4
	v_mul_lo_u32 v8, s29, v5
	v_mad_co_u64_u32 v[48:49], null, s28, v5, v[48:49]
	s_delay_alu instid0(VALU_DEP_4) | instskip(NEXT) | instid1(VALU_DEP_2)
	v_add3_u32 v2, v7, v2, v6
	v_add3_u32 v49, v8, v49, v4
	s_wait_alu 0xfffe
	s_cbranch_vccnz .LBB0_9
; %bb.7:                                ;   in Loop: Header=BB0_2 Depth=1
	v_dual_mov_b32 v5, v50 :: v_dual_mov_b32 v6, v51
	s_branch .LBB0_2
.LBB0_8:
	s_delay_alu instid0(VALU_DEP_2) | instskip(NEXT) | instid1(VALU_DEP_2)
	v_dual_mov_b32 v49, v2 :: v_dual_mov_b32 v48, v1
	v_dual_mov_b32 v51, v6 :: v_dual_mov_b32 v50, v5
.LBB0_9:
	s_load_b64 s[0:1], s[0:1], 0x28
	v_mul_hi_u32 v3, 0x2e8ba2f, v0
	s_lshl_b64 s[2:3], s[10:11], 3
                                        ; implicit-def: $vgpr38_vgpr39
                                        ; implicit-def: $vgpr42_vgpr43
                                        ; implicit-def: $vgpr34_vgpr35
                                        ; implicit-def: $vgpr26_vgpr27
                                        ; implicit-def: $vgpr6_vgpr7
                                        ; implicit-def: $vgpr14_vgpr15
                                        ; implicit-def: $vgpr18_vgpr19
                                        ; implicit-def: $vgpr22_vgpr23
                                        ; implicit-def: $vgpr30_vgpr31
                                        ; implicit-def: $vgpr46_vgpr47
                                        ; implicit-def: $vgpr10_vgpr11
	s_delay_alu instid0(VALU_DEP_1) | instskip(NEXT) | instid1(VALU_DEP_1)
	v_mul_u32_u24_e32 v3, 0x58, v3
	v_sub_nc_u32_e32 v112, v0, v3
	s_wait_kmcnt 0x0
	v_cmp_gt_u64_e32 vcc_lo, s[0:1], v[50:51]
	s_delay_alu instid0(VALU_DEP_2) | instskip(NEXT) | instid1(VALU_DEP_1)
	v_cmp_gt_u32_e64 s0, 56, v112
	s_and_b32 s1, vcc_lo, s0
	s_wait_alu 0xfffe
	s_and_saveexec_b32 s20, s1
	s_cbranch_execz .LBB0_11
; %bb.10:
	s_add_nc_u64 s[10:11], s[12:13], s[2:3]
	v_mad_co_u64_u32 v[3:4], null, s18, v112, 0
	s_load_b64 s[10:11], s[10:11], 0x0
	v_add_nc_u32_e32 v11, 56, v112
	v_add_nc_u32_e32 v20, 0x70, v112
	;; [unrolled: 1-line block ×3, first 2 shown]
	s_delay_alu instid0(VALU_DEP_4) | instskip(NEXT) | instid1(VALU_DEP_4)
	v_mov_b32_e32 v0, v4
	v_mad_co_u64_u32 v[5:6], null, s18, v11, 0
	s_delay_alu instid0(VALU_DEP_4) | instskip(NEXT) | instid1(VALU_DEP_3)
	v_mad_co_u64_u32 v[12:13], null, s18, v20, 0
	v_mad_co_u64_u32 v[9:10], null, s19, v112, v[0:1]
	v_add_nc_u32_e32 v21, 0xa8, v112
	v_lshlrev_b64_e32 v[0:1], 4, v[1:2]
	v_mov_b32_e32 v2, v6
	v_mad_co_u64_u32 v[16:17], null, s18, v22, 0
	v_mov_b32_e32 v6, v13
	v_mad_co_u64_u32 v[14:15], null, s18, v21, 0
	s_wait_kmcnt 0x0
	v_mul_lo_u32 v4, s11, v50
	v_mul_lo_u32 v18, s10, v51
	v_mad_co_u64_u32 v[7:8], null, s10, v50, 0
	s_delay_alu instid0(VALU_DEP_4) | instskip(NEXT) | instid1(VALU_DEP_2)
	v_mov_b32_e32 v10, v15
	v_add3_u32 v8, v8, v18, v4
	v_mad_co_u64_u32 v[18:19], null, s19, v11, v[2:3]
	v_mov_b32_e32 v4, v9
	s_delay_alu instid0(VALU_DEP_3) | instskip(NEXT) | instid1(VALU_DEP_2)
	v_lshlrev_b64_e32 v[7:8], 4, v[7:8]
	v_lshlrev_b64_e32 v[2:3], 4, v[3:4]
	s_delay_alu instid0(VALU_DEP_2) | instskip(SKIP_2) | instid1(VALU_DEP_4)
	v_mad_co_u64_u32 v[19:20], null, s19, v20, v[6:7]
	v_add_co_u32 v4, s1, s4, v7
	s_wait_alu 0xf1ff
	v_add_co_ci_u32_e64 v7, s1, s5, v8, s1
	v_mov_b32_e32 v6, v18
	s_delay_alu instid0(VALU_DEP_3) | instskip(SKIP_1) | instid1(VALU_DEP_3)
	v_add_co_u32 v23, s1, v4, v0
	s_wait_alu 0xf1ff
	v_add_co_ci_u32_e64 v24, s1, v7, v1, s1
	v_mov_b32_e32 v13, v19
	v_add_nc_u32_e32 v19, 0x188, v112
	v_lshlrev_b64_e32 v[0:1], 4, v[5:6]
	v_add_co_u32 v2, s1, v23, v2
	s_wait_alu 0xf1ff
	v_add_co_ci_u32_e64 v3, s1, v24, v3, s1
	v_mad_co_u64_u32 v[4:5], null, s19, v21, v[10:11]
	s_delay_alu instid0(VALU_DEP_4)
	v_add_co_u32 v0, s1, v23, v0
	s_wait_alu 0xf1ff
	v_add_co_ci_u32_e64 v1, s1, v24, v1, s1
	s_clause 0x1
	global_load_b128 v[8:11], v[2:3], off
	global_load_b128 v[36:39], v[0:1], off
	v_dual_mov_b32 v7, v17 :: v_dual_add_nc_u32 v18, 0x118, v112
	v_mov_b32_e32 v15, v4
	v_lshlrev_b64_e32 v[0:1], 4, v[12:13]
	v_or_b32_e32 v20, 0x1c0, v112
	s_delay_alu instid0(VALU_DEP_4) | instskip(SKIP_1) | instid1(VALU_DEP_4)
	v_mad_co_u64_u32 v[5:6], null, s18, v18, 0
	v_add_nc_u32_e32 v21, 0x1f8, v112
	v_add_co_u32 v0, s1, v23, v0
	s_wait_alu 0xf1ff
	v_add_co_ci_u32_e64 v1, s1, v24, v1, s1
	s_wait_loadcnt 0x1
	v_mad_co_u64_u32 v[2:3], null, s19, v22, v[7:8]
	v_mov_b32_e32 v3, v6
	v_lshlrev_b64_e32 v[6:7], 4, v[14:15]
	s_delay_alu instid0(VALU_DEP_3) | instskip(NEXT) | instid1(VALU_DEP_3)
	v_mov_b32_e32 v17, v2
	v_mad_co_u64_u32 v[2:3], null, s19, v18, v[3:4]
	s_delay_alu instid0(VALU_DEP_3) | instskip(NEXT) | instid1(VALU_DEP_3)
	v_add_co_u32 v3, s1, v23, v6
	v_lshlrev_b64_e32 v[12:13], 4, v[16:17]
	s_wait_alu 0xf1ff
	v_add_co_ci_u32_e64 v4, s1, v24, v7, s1
	s_clause 0x1
	global_load_b128 v[44:47], v[0:1], off
	global_load_b128 v[40:43], v[3:4], off
	v_add_co_u32 v0, s1, v23, v12
	s_wait_alu 0xf1ff
	v_add_co_ci_u32_e64 v1, s1, v24, v13, s1
	v_mad_co_u64_u32 v[12:13], null, s18, v20, 0
	v_add_nc_u32_e32 v18, 0x150, v112
	v_mov_b32_e32 v6, v2
	v_mad_co_u64_u32 v[16:17], null, s18, v21, 0
	s_delay_alu instid0(VALU_DEP_3) | instskip(NEXT) | instid1(VALU_DEP_3)
	v_mad_co_u64_u32 v[14:15], null, s18, v18, 0
	v_lshlrev_b64_e32 v[3:4], 4, v[5:6]
	s_delay_alu instid0(VALU_DEP_2) | instskip(NEXT) | instid1(VALU_DEP_1)
	v_mov_b32_e32 v2, v15
	v_mad_co_u64_u32 v[5:6], null, s19, v18, v[2:3]
	v_mad_co_u64_u32 v[6:7], null, s18, v19, 0
	v_add_co_u32 v2, s1, v23, v3
	s_wait_alu 0xf1ff
	v_add_co_ci_u32_e64 v3, s1, v24, v4, s1
	s_delay_alu instid0(VALU_DEP_4) | instskip(NEXT) | instid1(VALU_DEP_4)
	v_mov_b32_e32 v15, v5
	v_dual_mov_b32 v5, v13 :: v_dual_mov_b32 v4, v7
	s_clause 0x1
	global_load_b128 v[32:35], v[0:1], off
	global_load_b128 v[28:31], v[2:3], off
	v_mov_b32_e32 v0, v17
	v_lshlrev_b64_e32 v[1:2], 4, v[14:15]
	v_mad_co_u64_u32 v[18:19], null, s19, v19, v[4:5]
	v_mad_co_u64_u32 v[4:5], null, s19, v20, v[5:6]
	s_delay_alu instid0(VALU_DEP_2) | instskip(NEXT) | instid1(VALU_DEP_2)
	v_dual_mov_b32 v7, v18 :: v_dual_add_nc_u32 v22, 0x230, v112
	v_mov_b32_e32 v13, v4
	s_delay_alu instid0(VALU_DEP_2)
	v_mad_co_u64_u32 v[19:20], null, s18, v22, 0
	v_mad_co_u64_u32 v[3:4], null, s19, v21, v[0:1]
	v_add_co_u32 v1, s1, v23, v1
	v_lshlrev_b64_e32 v[4:5], 4, v[6:7]
	v_lshlrev_b64_e32 v[12:13], 4, v[12:13]
	v_mov_b32_e32 v0, v20
	s_wait_alu 0xf1ff
	v_add_co_ci_u32_e64 v2, s1, v24, v2, s1
	v_mov_b32_e32 v17, v3
	v_add_co_u32 v3, s1, v23, v4
	v_mad_co_u64_u32 v[6:7], null, s19, v22, v[0:1]
	s_wait_alu 0xf1ff
	v_add_co_ci_u32_e64 v4, s1, v24, v5, s1
	v_lshlrev_b64_e32 v[14:15], 4, v[16:17]
	v_add_co_u32 v5, s1, v23, v12
	s_delay_alu instid0(VALU_DEP_4) | instskip(SKIP_2) | instid1(VALU_DEP_4)
	v_mov_b32_e32 v20, v6
	s_wait_alu 0xf1ff
	v_add_co_ci_u32_e64 v6, s1, v24, v13, s1
	v_add_co_u32 v14, s1, v23, v14
	s_delay_alu instid0(VALU_DEP_3) | instskip(SKIP_2) | instid1(VALU_DEP_2)
	v_lshlrev_b64_e32 v[12:13], 4, v[19:20]
	s_wait_alu 0xf1ff
	v_add_co_ci_u32_e64 v15, s1, v24, v15, s1
	v_add_co_u32 v52, s1, v23, v12
	s_wait_alu 0xf1ff
	s_delay_alu instid0(VALU_DEP_3)
	v_add_co_ci_u32_e64 v53, s1, v24, v13, s1
	s_clause 0x4
	global_load_b128 v[24:27], v[1:2], off
	global_load_b128 v[20:23], v[3:4], off
	;; [unrolled: 1-line block ×5, first 2 shown]
.LBB0_11:
	s_or_b32 exec_lo, exec_lo, s20
	s_wait_loadcnt 0x0
	v_add_f64_e32 v[62:63], v[36:37], v[4:5]
	v_add_f64_e64 v[100:101], v[36:37], -v[4:5]
	s_mov_b32 s4, 0x7f775887
	s_mov_b32 s22, 0xbb3a28a1
	s_mov_b32 s5, 0xbfe4f49e
	s_mov_b32 s23, 0xbfe82f19
	v_add_f64_e64 v[102:103], v[38:39], -v[6:7]
	v_add_f64_e32 v[60:61], v[12:13], v[44:45]
	v_add_f64_e32 v[72:73], v[38:39], v[6:7]
	v_add_f64_e64 v[82:83], v[44:45], -v[12:13]
	s_mov_b32 s10, 0x640f44db
	s_mov_b32 s24, 0x43842ef
	s_mov_b32 s11, 0xbfc2375f
	s_mov_b32 s25, 0x3fefac9e
	v_add_f64_e64 v[92:93], v[46:47], -v[14:15]
	v_add_f64_e32 v[56:57], v[40:41], v[16:17]
	;; [unrolled: 8-line block ×4, first 2 shown]
	v_add_f64_e32 v[54:55], v[24:25], v[28:29]
	v_add_f64_e64 v[94:95], v[28:29], -v[24:25]
	s_mov_b32 s20, 0xd9c712b6
	s_mov_b32 s21, 0x3fda9628
	;; [unrolled: 1-line block ×4, first 2 shown]
	s_wait_alu 0xfffe
	v_mul_f64_e32 v[80:81], s[4:5], v[62:63]
	v_mul_f64_e32 v[86:87], s[22:23], v[100:101]
	v_add_f64_e64 v[88:89], v[30:31], -v[26:27]
	s_add_nc_u64 s[2:3], s[14:15], s[2:3]
	v_mul_f64_e32 v[84:85], s[10:11], v[60:61]
	v_mul_f64_e32 v[90:91], s[24:25], v[82:83]
	;; [unrolled: 1-line block ×7, first 2 shown]
	v_fma_f64 v[0:1], v[102:103], s[22:23], v[80:81]
	v_fma_f64 v[2:3], v[72:73], s[4:5], -v[86:87]
	v_fma_f64 v[58:59], v[92:93], s[24:25], v[84:85]
	v_fma_f64 v[66:67], v[74:75], s[10:11], -v[90:91]
	;; [unrolled: 2-line block ×4, first 2 shown]
	v_add_f64_e32 v[0:1], v[0:1], v[8:9]
	v_add_f64_e32 v[2:3], v[2:3], v[10:11]
	s_delay_alu instid0(VALU_DEP_2) | instskip(NEXT) | instid1(VALU_DEP_2)
	v_add_f64_e32 v[0:1], v[58:59], v[0:1]
	v_add_f64_e32 v[2:3], v[2:3], v[66:67]
	;; [unrolled: 1-line block ×3, first 2 shown]
	v_mul_f64_e32 v[66:67], s[20:21], v[54:55]
	s_delay_alu instid0(VALU_DEP_4) | instskip(NEXT) | instid1(VALU_DEP_4)
	v_add_f64_e32 v[0:1], v[113:114], v[0:1]
	v_add_f64_e32 v[2:3], v[115:116], v[2:3]
	s_delay_alu instid0(VALU_DEP_4) | instskip(NEXT) | instid1(VALU_DEP_4)
	v_fma_f64 v[115:116], v[58:59], s[20:21], -v[68:69]
	v_fma_f64 v[113:114], v[88:89], s[30:31], v[66:67]
	s_delay_alu instid0(VALU_DEP_4) | instskip(NEXT) | instid1(VALU_DEP_4)
	v_add_f64_e32 v[0:1], v[117:118], v[0:1]
	v_add_f64_e32 v[2:3], v[119:120], v[2:3]
	s_delay_alu instid0(VALU_DEP_2) | instskip(NEXT) | instid1(VALU_DEP_2)
	v_add_f64_e32 v[0:1], v[113:114], v[0:1]
	v_add_f64_e32 v[2:3], v[115:116], v[2:3]
	s_and_saveexec_b32 s33, s0
	s_cbranch_execz .LBB0_13
; %bb.12:
	v_add_f64_e32 v[38:39], v[38:39], v[10:11]
	v_add_f64_e32 v[36:37], v[36:37], v[8:9]
	v_mul_f64_e32 v[119:120], s[26:27], v[102:103]
	s_mov_b32 s1, 0xbfefac9e
	s_mov_b32 s0, s24
	v_mul_f64_e32 v[113:114], s[30:31], v[108:109]
	v_mul_f64_e32 v[115:116], s[30:31], v[110:111]
	;; [unrolled: 1-line block ×9, first 2 shown]
	s_wait_alu 0xfffe
	v_mul_f64_e32 v[151:152], s[0:1], v[100:101]
	v_mul_f64_e32 v[153:154], s[0:1], v[102:103]
	s_mov_b32 s35, 0x3fd207e7
	s_mov_b32 s34, s26
	;; [unrolled: 1-line block ×4, first 2 shown]
	v_mul_f64_e32 v[137:138], s[24:25], v[92:93]
	v_mul_f64_e32 v[139:140], s[22:23], v[96:97]
	;; [unrolled: 1-line block ×5, first 2 shown]
	s_wait_alu 0xfffe
	v_mul_f64_e32 v[169:170], s[34:35], v[82:83]
	v_mul_f64_e32 v[171:172], s[14:15], v[92:93]
	;; [unrolled: 1-line block ×13, first 2 shown]
	v_add_f64_e32 v[38:39], v[46:47], v[38:39]
	v_add_f64_e32 v[36:37], v[44:45], v[36:37]
	v_mul_f64_e32 v[44:45], s[22:23], v[102:103]
	v_mul_f64_e32 v[46:47], s[4:5], v[72:73]
	v_fma_f64 v[177:178], v[62:63], s[18:19], v[119:120]
	v_fma_f64 v[119:120], v[62:63], s[18:19], -v[119:120]
	v_mul_f64_e32 v[155:156], s[28:29], v[110:111]
	v_mul_f64_e32 v[157:158], s[24:25], v[110:111]
	;; [unrolled: 1-line block ×4, first 2 shown]
	v_fma_f64 v[179:180], v[62:63], s[12:13], v[125:126]
	v_fma_f64 v[125:126], v[62:63], s[12:13], -v[125:126]
	v_add_f64_e32 v[106:107], v[129:130], v[106:107]
	v_add_f64_e32 v[90:91], v[131:132], v[90:91]
	v_add_f64_e64 v[104:105], v[104:105], -v[135:136]
	v_fma_f64 v[129:130], v[72:73], s[10:11], -v[151:152]
	v_fma_f64 v[131:132], v[62:63], s[10:11], v[153:154]
	v_fma_f64 v[135:136], v[72:73], s[10:11], v[151:152]
	v_fma_f64 v[153:154], v[62:63], s[10:11], -v[153:154]
	v_mul_f64_e32 v[161:162], s[22:23], v[88:89]
	v_mul_f64_e32 v[163:164], s[26:27], v[88:89]
	v_fma_f64 v[185:186], v[60:61], s[18:19], v[173:174]
	v_fma_f64 v[173:174], v[60:61], s[18:19], -v[173:174]
	v_fma_f64 v[189:190], v[56:57], s[10:11], v[98:99]
	v_add_f64_e32 v[38:39], v[42:43], v[38:39]
	v_add_f64_e32 v[36:37], v[40:41], v[36:37]
	v_mul_f64_e32 v[42:43], s[26:27], v[100:101]
	v_mul_f64_e32 v[40:41], s[30:31], v[88:89]
	s_mov_b32 s31, 0xbfed1bb4
	v_add_f64_e32 v[46:47], v[46:47], v[86:87]
	s_wait_alu 0xfffe
	v_mul_f64_e32 v[100:101], s[30:31], v[100:101]
	v_mul_f64_e32 v[102:103], s[30:31], v[102:103]
	v_add_f64_e64 v[44:45], v[80:81], -v[44:45]
	v_mul_f64_e32 v[82:83], s[30:31], v[82:83]
	v_mul_f64_e32 v[92:93], s[30:31], v[92:93]
	v_fma_f64 v[80:81], v[72:73], s[12:13], -v[117:118]
	v_fma_f64 v[117:118], v[72:73], s[12:13], v[117:118]
	v_add_f64_e32 v[119:120], v[119:120], v[8:9]
	v_add_f64_e32 v[125:126], v[125:126], v[8:9]
	;; [unrolled: 1-line block ×8, first 2 shown]
	v_fma_f64 v[86:87], v[72:73], s[18:19], -v[42:43]
	v_fma_f64 v[42:43], v[72:73], s[18:19], v[42:43]
	v_mul_f64_e32 v[36:37], s[20:21], v[58:59]
	v_add_f64_e32 v[46:47], v[46:47], v[10:11]
	v_fma_f64 v[151:152], v[72:73], s[20:21], v[100:101]
	v_fma_f64 v[181:182], v[62:63], s[20:21], -v[102:103]
	v_fma_f64 v[72:73], v[72:73], s[20:21], -v[100:101]
	v_fma_f64 v[62:63], v[62:63], s[20:21], v[102:103]
	v_add_f64_e32 v[44:45], v[44:45], v[8:9]
	v_fma_f64 v[100:101], v[74:75], s[4:5], -v[141:142]
	v_fma_f64 v[102:103], v[74:75], s[4:5], v[141:142]
	v_fma_f64 v[141:142], v[74:75], s[12:13], -v[167:168]
	v_fma_f64 v[183:184], v[74:75], s[20:21], -v[82:83]
	v_fma_f64 v[187:188], v[60:61], s[20:21], v[92:93]
	v_add_f64_e32 v[80:81], v[80:81], v[10:11]
	v_add_f64_e32 v[117:118], v[117:118], v[10:11]
	v_mul_f64_e32 v[38:39], s[22:23], v[94:95]
	v_add_f64_e32 v[30:31], v[30:31], v[34:35]
	v_add_f64_e32 v[28:29], v[28:29], v[32:33]
	v_add_f64_e64 v[32:33], v[84:85], -v[137:138]
	v_fma_f64 v[34:35], v[70:71], s[4:5], -v[139:140]
	v_fma_f64 v[84:85], v[70:71], s[4:5], v[139:140]
	v_fma_f64 v[137:138], v[60:61], s[4:5], v[143:144]
	v_fma_f64 v[139:140], v[60:61], s[4:5], -v[143:144]
	v_fma_f64 v[143:144], v[74:75], s[12:13], v[167:168]
	v_fma_f64 v[167:168], v[74:75], s[18:19], -v[169:170]
	v_fma_f64 v[169:170], v[74:75], s[18:19], v[169:170]
	v_fma_f64 v[74:75], v[74:75], s[20:21], v[82:83]
	;; [unrolled: 1-line block ×3, first 2 shown]
	v_fma_f64 v[171:172], v[60:61], s[12:13], -v[171:172]
	v_add_f64_e32 v[86:87], v[86:87], v[10:11]
	v_fma_f64 v[60:61], v[60:61], s[20:21], -v[92:93]
	v_add_f64_e32 v[92:93], v[177:178], v[8:9]
	v_add_f64_e32 v[42:43], v[42:43], v[10:11]
	;; [unrolled: 1-line block ×8, first 2 shown]
	v_fma_f64 v[72:73], v[56:57], s[4:5], v[145:146]
	v_fma_f64 v[179:180], v[70:71], s[18:19], -v[165:166]
	v_fma_f64 v[165:166], v[70:71], s[18:19], v[165:166]
	v_fma_f64 v[181:182], v[70:71], s[10:11], -v[96:97]
	v_add_f64_e32 v[90:91], v[185:186], v[131:132]
	v_fma_f64 v[131:132], v[64:65], s[4:5], -v[108:109]
	v_add_f64_e32 v[26:27], v[26:27], v[30:31]
	v_add_f64_e32 v[24:25], v[24:25], v[28:29]
	;; [unrolled: 1-line block ×3, first 2 shown]
	v_fma_f64 v[28:29], v[70:71], s[20:21], -v[121:122]
	v_fma_f64 v[30:31], v[70:71], s[20:21], v[121:122]
	v_fma_f64 v[121:122], v[56:57], s[4:5], -v[145:146]
	v_fma_f64 v[145:146], v[56:57], s[20:21], v[123:124]
	;; [unrolled: 2-line block ×3, first 2 shown]
	v_fma_f64 v[96:97], v[56:57], s[18:19], v[175:176]
	v_fma_f64 v[175:176], v[56:57], s[18:19], -v[175:176]
	v_fma_f64 v[56:57], v[56:57], s[10:11], -v[98:99]
	v_add_f64_e32 v[44:45], v[80:81], v[183:184]
	v_add_f64_e32 v[86:87], v[86:87], v[141:142]
	;; [unrolled: 1-line block ×16, first 2 shown]
	v_mul_f64_e32 v[98:99], s[0:1], v[94:95]
	v_mul_f64_e32 v[141:142], s[0:1], v[88:89]
	v_fma_f64 v[100:101], v[64:65], s[12:13], -v[147:148]
	v_fma_f64 v[129:130], v[64:65], s[10:11], v[149:150]
	v_mul_f64_e32 v[94:95], s[14:15], v[94:95]
	v_mul_f64_e32 v[88:89], s[14:15], v[88:89]
	v_fma_f64 v[135:136], v[52:53], s[12:13], -v[155:156]
	v_fma_f64 v[137:138], v[52:53], s[10:11], v[157:158]
	v_fma_f64 v[139:140], v[52:53], s[10:11], -v[157:158]
	v_fma_f64 v[143:144], v[52:53], s[4:5], v[110:111]
	v_add_f64_e32 v[22:23], v[22:23], v[26:27]
	v_add_f64_e32 v[20:21], v[20:21], v[24:25]
	;; [unrolled: 1-line block ×3, first 2 shown]
	v_add_f64_e64 v[26:27], v[76:77], -v[133:134]
	v_add_f64_e32 v[32:33], v[104:105], v[32:33]
	v_fma_f64 v[76:77], v[64:65], s[20:21], -v[113:114]
	v_fma_f64 v[78:79], v[64:65], s[20:21], v[113:114]
	v_fma_f64 v[113:114], v[64:65], s[12:13], v[147:148]
	v_fma_f64 v[127:128], v[64:65], s[10:11], -v[149:150]
	v_fma_f64 v[64:65], v[64:65], s[4:5], v[108:109]
	v_fma_f64 v[108:109], v[52:53], s[20:21], v[115:116]
	v_fma_f64 v[115:116], v[52:53], s[20:21], -v[115:116]
	v_fma_f64 v[133:134], v[52:53], s[12:13], v[155:156]
	v_add_f64_e32 v[34:35], v[34:35], v[86:87]
	v_fma_f64 v[52:53], v[52:53], s[4:5], -v[110:111]
	v_add_f64_e32 v[72:73], v[72:73], v[82:83]
	v_add_f64_e32 v[42:43], v[84:85], v[42:43]
	;; [unrolled: 1-line block ×15, first 2 shown]
	v_fma_f64 v[96:97], v[58:59], s[10:11], -v[98:99]
	v_fma_f64 v[98:99], v[58:59], s[10:11], v[98:99]
	v_fma_f64 v[104:105], v[54:55], s[10:11], -v[141:142]
	v_fma_f64 v[102:103], v[58:59], s[12:13], -v[94:95]
	;; [unrolled: 1-line block ×3, first 2 shown]
	v_fma_f64 v[90:91], v[54:55], s[18:19], v[163:164]
	v_fma_f64 v[92:93], v[54:55], s[18:19], -v[163:164]
	v_fma_f64 v[106:107], v[54:55], s[12:13], v[88:89]
	v_add_f64_e32 v[18:19], v[18:19], v[22:23]
	v_add_f64_e32 v[16:17], v[16:17], v[20:21]
	;; [unrolled: 1-line block ×3, first 2 shown]
	v_add_f64_e64 v[22:23], v[66:67], -v[40:41]
	v_add_f64_e32 v[24:25], v[24:25], v[46:47]
	v_add_f64_e32 v[26:27], v[26:27], v[32:33]
	v_fma_f64 v[36:37], v[58:59], s[4:5], -v[38:39]
	v_fma_f64 v[38:39], v[58:59], s[4:5], v[38:39]
	v_fma_f64 v[40:41], v[58:59], s[18:19], -v[159:160]
	v_fma_f64 v[66:67], v[58:59], s[18:19], v[159:160]
	v_fma_f64 v[58:59], v[58:59], s[12:13], v[94:95]
	;; [unrolled: 1-line block ×4, first 2 shown]
	v_add_f64_e32 v[34:35], v[76:77], v[34:35]
	v_fma_f64 v[54:55], v[54:55], s[12:13], -v[88:89]
	v_add_f64_e32 v[72:73], v[108:109], v[72:73]
	v_add_f64_e32 v[42:43], v[78:79], v[42:43]
	v_add_f64_e32 v[76:77], v[115:116], v[82:83]
	v_add_f64_e32 v[32:33], v[131:132], v[44:45]
	v_add_f64_e32 v[44:45], v[64:65], v[70:71]
	v_add_f64_e32 v[46:47], v[52:53], v[56:57]
	v_add_f64_e32 v[28:29], v[100:101], v[28:29]
	v_add_f64_e32 v[52:53], v[133:134], v[60:61]
	v_add_f64_e32 v[56:57], v[113:114], v[30:31]
	v_add_f64_e32 v[60:61], v[129:130], v[74:75]
	v_add_f64_e32 v[64:65], v[139:140], v[80:81]
	v_add_f64_e32 v[70:71], v[135:136], v[84:85]
	v_add_f64_e32 v[74:75], v[127:128], v[10:11]
	v_add_f64_e32 v[62:63], v[137:138], v[62:63]
	v_add_f64_e32 v[82:83], v[143:144], v[8:9]
	v_add_f64_e32 v[78:79], v[14:15], v[18:19]
	v_add_f64_e32 v[80:81], v[12:13], v[16:17]
	v_add_f64_e32 v[18:19], v[20:21], v[24:25]
	v_add_f64_e32 v[16:17], v[22:23], v[26:27]
	v_add_f64_e32 v[10:11], v[96:97], v[34:35]
	v_add_f64_e32 v[8:9], v[94:95], v[72:73]
	v_add_f64_e32 v[14:15], v[98:99], v[42:43]
	v_add_f64_e32 v[12:13], v[104:105], v[76:77]
	v_add_f64_e32 v[22:23], v[40:41], v[32:33]
	v_add_f64_e32 v[26:27], v[66:67], v[44:45]
	v_add_f64_e32 v[24:25], v[92:93], v[46:47]
	v_add_f64_e32 v[30:31], v[36:37], v[28:29]
	v_add_f64_e32 v[28:29], v[68:69], v[52:53]
	v_add_f64_e32 v[34:35], v[38:39], v[56:57]
	v_add_f64_e32 v[38:39], v[58:59], v[60:61]
	v_add_f64_e32 v[36:37], v[54:55], v[64:65]
	v_add_f64_e32 v[32:33], v[86:87], v[70:71]
	v_add_f64_e32 v[42:43], v[102:103], v[74:75]
	v_add_f64_e32 v[40:41], v[106:107], v[62:63]
	v_add_f64_e32 v[20:21], v[90:91], v[82:83]
	v_mad_u32_u24 v44, 0xb0, v112, 0
	v_add_f64_e32 v[6:7], v[6:7], v[78:79]
	v_add_f64_e32 v[4:5], v[4:5], v[80:81]
	ds_store_b128 v44, v[16:19] offset:64
	ds_store_b128 v44, v[12:15] offset:80
	;; [unrolled: 1-line block ×9, first 2 shown]
	ds_store_b128 v44, v[4:7]
	ds_store_b128 v44, v[20:23] offset:160
.LBB0_13:
	s_or_b32 exec_lo, exec_lo, s33
	v_and_b32_e32 v4, 0xff, v112
	s_load_b64 s[2:3], s[2:3], 0x0
	global_wb scope:SCOPE_SE
	s_wait_dscnt 0x0
	s_wait_kmcnt 0x0
	s_barrier_signal -1
	s_barrier_wait -1
	v_mul_lo_u16 v4, 0x75, v4
	global_inv scope:SCOPE_SE
	v_lshl_add_u32 v32, v112, 4, 0
	s_mov_b32 s0, 0x37e14327
	s_mov_b32 s1, 0x3fe948f6
	v_lshrrev_b16 v4, 8, v4
	s_mov_b32 s4, 0x36b3c0b5
	s_mov_b32 s10, 0xe976ee23
	;; [unrolled: 1-line block ×4, first 2 shown]
	v_sub_nc_u16 v5, v112, v4
	s_mov_b32 s13, 0x3fe77f67
	s_mov_b32 s12, 0x5476071b
	;; [unrolled: 1-line block ×4, first 2 shown]
	v_lshrrev_b16 v5, 1, v5
	s_delay_alu instid0(VALU_DEP_1) | instskip(NEXT) | instid1(VALU_DEP_1)
	v_and_b32_e32 v5, 0x7f, v5
	v_add_nc_u16 v4, v5, v4
	s_delay_alu instid0(VALU_DEP_1) | instskip(NEXT) | instid1(VALU_DEP_1)
	v_lshrrev_b16 v47, 3, v4
	v_mul_lo_u16 v4, v47, 11
	s_delay_alu instid0(VALU_DEP_1) | instskip(NEXT) | instid1(VALU_DEP_1)
	v_sub_nc_u16 v4, v112, v4
	v_and_b32_e32 v70, 0xff, v4
	s_delay_alu instid0(VALU_DEP_1) | instskip(NEXT) | instid1(VALU_DEP_1)
	v_mul_u32_u24_e32 v4, 6, v70
	v_lshlrev_b32_e32 v24, 4, v4
	s_clause 0x5
	global_load_b128 v[4:7], v24, s[8:9]
	global_load_b128 v[8:11], v24, s[8:9] offset:16
	global_load_b128 v[12:15], v24, s[8:9] offset:80
	;; [unrolled: 1-line block ×5, first 2 shown]
	ds_load_b128 v[28:31], v32 offset:1408
	ds_load_b128 v[33:36], v32 offset:2816
	;; [unrolled: 1-line block ×6, first 2 shown]
	s_wait_loadcnt_dscnt 0x505
	v_mul_f64_e32 v[45:46], v[30:31], v[6:7]
	v_mul_f64_e32 v[6:7], v[28:29], v[6:7]
	s_wait_loadcnt_dscnt 0x404
	v_mul_f64_e32 v[60:61], v[35:36], v[10:11]
	v_mul_f64_e32 v[10:11], v[33:34], v[10:11]
	;; [unrolled: 3-line block ×6, first 2 shown]
	v_fma_f64 v[28:29], v[28:29], v[4:5], -v[45:46]
	v_fma_f64 v[4:5], v[30:31], v[4:5], v[6:7]
	v_fma_f64 v[6:7], v[33:34], v[8:9], -v[60:61]
	v_fma_f64 v[8:9], v[35:36], v[8:9], v[10:11]
	;; [unrolled: 2-line block ×6, first 2 shown]
	v_add_f64_e32 v[26:27], v[28:29], v[10:11]
	v_add_f64_e32 v[30:31], v[4:5], v[12:13]
	;; [unrolled: 1-line block ×4, first 2 shown]
	v_add_f64_e64 v[14:15], v[6:7], -v[14:15]
	v_add_f64_e64 v[8:9], v[8:9], -v[16:17]
	v_add_f64_e32 v[37:38], v[18:19], v[22:23]
	v_add_f64_e32 v[39:40], v[20:21], v[24:25]
	v_add_f64_e64 v[16:17], v[22:23], -v[18:19]
	v_add_f64_e64 v[18:19], v[24:25], -v[20:21]
	;; [unrolled: 1-line block ×4, first 2 shown]
	v_add_f64_e32 v[4:5], v[33:34], v[26:27]
	v_add_f64_e32 v[6:7], v[35:36], v[30:31]
	v_add_f64_e64 v[20:21], v[26:27], -v[37:38]
	v_add_f64_e64 v[22:23], v[30:31], -v[39:40]
	;; [unrolled: 1-line block ×10, first 2 shown]
	v_add_f64_e32 v[14:15], v[16:17], v[14:15]
	v_add_f64_e32 v[8:9], v[18:19], v[8:9]
	v_add_f64_e64 v[16:17], v[10:11], -v[16:17]
	v_add_f64_e64 v[18:19], v[12:13], -v[18:19]
	v_add_f64_e32 v[37:38], v[37:38], v[4:5]
	v_add_f64_e32 v[39:40], v[39:40], v[6:7]
	ds_load_b128 v[4:7], v32
	global_wb scope:SCOPE_SE
	s_wait_dscnt 0x0
	s_wait_alu 0xfffe
	v_mul_f64_e32 v[20:21], s[0:1], v[20:21]
	v_mul_f64_e32 v[22:23], s[0:1], v[22:23]
	s_mov_b32 s0, 0x429ad128
	v_mul_f64_e32 v[33:34], s[4:5], v[24:25]
	v_mul_f64_e32 v[35:36], s[4:5], v[28:29]
	;; [unrolled: 1-line block ×4, first 2 shown]
	s_mov_b32 s1, 0x3febfeb5
	s_mov_b32 s10, 0xaaaaaaaa
	s_wait_alu 0xfffe
	v_mul_f64_e32 v[54:55], s[0:1], v[45:46]
	v_mul_f64_e32 v[56:57], s[0:1], v[52:53]
	s_mov_b32 s11, 0xbff2aaaa
	v_add_f64_e32 v[10:11], v[14:15], v[10:11]
	v_add_f64_e32 v[8:9], v[8:9], v[12:13]
	s_barrier_signal -1
	s_barrier_wait -1
	global_inv scope:SCOPE_SE
	v_add_f64_e32 v[4:5], v[4:5], v[37:38]
	v_add_f64_e32 v[6:7], v[6:7], v[39:40]
	v_fma_f64 v[12:13], v[24:25], s[4:5], v[20:21]
	v_fma_f64 v[14:15], v[28:29], s[4:5], v[22:23]
	v_fma_f64 v[24:25], v[26:27], s[12:13], -v[33:34]
	v_fma_f64 v[28:29], v[30:31], s[12:13], -v[35:36]
	s_mov_b32 s13, 0xbfe77f67
	v_fma_f64 v[33:34], v[16:17], s[14:15], v[41:42]
	v_fma_f64 v[35:36], v[18:19], s[14:15], v[43:44]
	s_mov_b32 s15, 0xbfd5d0dc
	v_fma_f64 v[41:42], v[45:46], s[0:1], -v[41:42]
	v_fma_f64 v[43:44], v[52:53], s[0:1], -v[43:44]
	s_wait_alu 0xfffe
	v_fma_f64 v[16:17], v[16:17], s[14:15], -v[54:55]
	v_fma_f64 v[18:19], v[18:19], s[14:15], -v[56:57]
	;; [unrolled: 1-line block ×4, first 2 shown]
	s_mov_b32 s0, 0x37c3f68c
	s_mov_b32 s1, 0x3fdc38aa
	v_fma_f64 v[37:38], v[37:38], s[10:11], v[4:5]
	v_fma_f64 v[39:40], v[39:40], s[10:11], v[6:7]
	s_wait_alu 0xfffe
	v_fma_f64 v[30:31], v[10:11], s[0:1], v[33:34]
	v_fma_f64 v[33:34], v[8:9], s[0:1], v[35:36]
	;; [unrolled: 1-line block ×6, first 2 shown]
	v_cmp_gt_u32_e64 s0, 0x4d, v112
	v_add_f64_e32 v[45:46], v[12:13], v[37:38]
	v_add_f64_e32 v[52:53], v[14:15], v[39:40]
	;; [unrolled: 1-line block ×7, first 2 shown]
	v_add_f64_e64 v[10:11], v[52:53], -v[30:31]
	v_add_f64_e32 v[12:13], v[43:44], v[54:55]
	v_add_f64_e64 v[14:15], v[56:57], -v[41:42]
	v_add_f64_e64 v[16:17], v[20:21], -v[35:36]
	v_add_f64_e32 v[18:19], v[26:27], v[22:23]
	v_add_f64_e32 v[20:21], v[35:36], v[20:21]
	v_add_f64_e64 v[22:23], v[22:23], -v[26:27]
	v_add_f64_e64 v[24:25], v[54:55], -v[43:44]
	v_add_f64_e32 v[26:27], v[41:42], v[56:57]
	v_add_f64_e64 v[28:29], v[45:46], -v[33:34]
	v_add_f64_e32 v[30:31], v[30:31], v[52:53]
	v_and_b32_e32 v33, 0xffff, v47
	v_lshlrev_b32_e32 v34, 4, v70
	s_delay_alu instid0(VALU_DEP_2) | instskip(NEXT) | instid1(VALU_DEP_1)
	v_mul_u32_u24_e32 v33, 0x4d0, v33
	v_add3_u32 v33, 0, v33, v34
	ds_store_b128 v33, v[4:7]
	ds_store_b128 v33, v[8:11] offset:176
	ds_store_b128 v33, v[12:15] offset:352
	;; [unrolled: 1-line block ×6, first 2 shown]
	global_wb scope:SCOPE_SE
	s_wait_dscnt 0x0
	s_barrier_signal -1
	s_barrier_wait -1
	global_inv scope:SCOPE_SE
	s_and_saveexec_b32 s1, s0
	s_cbranch_execnz .LBB0_16
; %bb.14:
	s_wait_alu 0xfffe
	s_or_b32 exec_lo, exec_lo, s1
	s_and_b32 s0, vcc_lo, s0
	s_wait_alu 0xfffe
	s_and_saveexec_b32 s1, s0
	s_cbranch_execnz .LBB0_17
.LBB0_15:
	s_endpgm
.LBB0_16:
	ds_load_b128 v[4:7], v32
	ds_load_b128 v[8:11], v32 offset:1232
	ds_load_b128 v[12:15], v32 offset:2464
	;; [unrolled: 1-line block ×7, first 2 shown]
	s_wait_alu 0xfffe
	s_or_b32 exec_lo, exec_lo, s1
	s_and_b32 s0, vcc_lo, s0
	s_wait_alu 0xfffe
	s_and_saveexec_b32 s1, s0
	s_cbranch_execz .LBB0_15
.LBB0_17:
	v_mul_u32_u24_e32 v32, 7, v112
	s_mov_b32 s1, 0xbfe6a09e
	s_delay_alu instid0(VALU_DEP_1)
	v_lshlrev_b32_e32 v60, 4, v32
	s_clause 0x6
	global_load_b128 v[32:35], v60, s[8:9] offset:1072
	global_load_b128 v[36:39], v60, s[8:9] offset:1136
	;; [unrolled: 1-line block ×7, first 2 shown]
	s_wait_loadcnt_dscnt 0x605
	v_mul_f64_e32 v[64:65], v[14:15], v[34:35]
	s_wait_loadcnt_dscnt 0x501
	v_mul_f64_e32 v[66:67], v[30:31], v[38:39]
	s_wait_loadcnt 0x4
	v_mul_f64_e32 v[68:69], v[22:23], v[40:41]
	s_wait_loadcnt 0x3
	;; [unrolled: 2-line block ×4, first 2 shown]
	v_mul_f64_e32 v[74:75], v[18:19], v[56:57]
	s_wait_loadcnt_dscnt 0x0
	v_mul_f64_e32 v[76:77], v[2:3], v[60:61]
	v_mul_f64_e32 v[46:47], v[8:9], v[46:47]
	;; [unrolled: 1-line block ×8, first 2 shown]
	v_fma_f64 v[12:13], v[12:13], v[32:33], -v[64:65]
	v_fma_f64 v[28:29], v[28:29], v[36:37], -v[66:67]
	v_fma_f64 v[42:43], v[20:21], v[42:43], v[68:69]
	v_fma_f64 v[8:9], v[8:9], v[44:45], -v[70:71]
	v_fma_f64 v[24:25], v[24:25], v[52:53], -v[72:73]
	v_fma_f64 v[58:59], v[16:17], v[58:59], v[74:75]
	v_fma_f64 v[62:63], v[0:1], v[62:63], v[76:77]
	;; [unrolled: 1-line block ×4, first 2 shown]
	v_fma_f64 v[16:17], v[16:17], v[56:57], -v[18:19]
	v_fma_f64 v[0:1], v[0:1], v[60:61], -v[2:3]
	;; [unrolled: 1-line block ×3, first 2 shown]
	v_fma_f64 v[14:15], v[14:15], v[32:33], v[34:35]
	v_fma_f64 v[18:19], v[30:31], v[36:37], v[38:39]
	v_mul_lo_u32 v64, s3, v50
	v_mul_lo_u32 v65, s2, v51
	v_lshlrev_b64_e32 v[40:41], 4, v[48:49]
	v_add_nc_u32_e32 v73, 0x134, v112
	v_add_nc_u32_e32 v75, 0x1ce, v112
	;; [unrolled: 1-line block ×3, first 2 shown]
	s_delay_alu instid0(VALU_DEP_1)
	v_mad_co_u64_u32 v[60:61], null, s16, v74, 0
	v_add_f64_e64 v[20:21], v[12:13], -v[28:29]
	v_add_f64_e64 v[22:23], v[6:7], -v[42:43]
	;; [unrolled: 1-line block ×4, first 2 shown]
	v_mad_co_u64_u32 v[62:63], null, s16, v75, 0
	v_add_f64_e64 v[26:27], v[10:11], -v[26:27]
	v_add_f64_e64 v[0:1], v[16:17], -v[0:1]
	;; [unrolled: 1-line block ×3, first 2 shown]
	v_add_nc_u32_e32 v76, 0x21b, v112
	v_add_f64_e64 v[18:19], v[14:15], -v[18:19]
	v_fma_f64 v[12:13], v[12:13], 2.0, -v[20:21]
	v_add_f64_e32 v[30:31], v[20:21], v[22:23]
	v_fma_f64 v[6:7], v[6:7], 2.0, -v[22:23]
	v_fma_f64 v[8:9], v[8:9], 2.0, -v[24:25]
	v_add_f64_e64 v[32:33], v[24:25], -v[28:29]
	v_fma_f64 v[10:11], v[10:11], 2.0, -v[26:27]
	v_add_f64_e32 v[34:35], v[26:27], v[0:1]
	v_fma_f64 v[4:5], v[4:5], 2.0, -v[2:3]
	v_fma_f64 v[0:1], v[16:17], 2.0, -v[0:1]
	v_add_f64_e64 v[36:37], v[2:3], -v[18:19]
	v_fma_f64 v[14:15], v[14:15], 2.0, -v[18:19]
	v_fma_f64 v[18:19], v[58:59], 2.0, -v[28:29]
	v_mad_co_u64_u32 v[28:29], null, s16, v112, 0
	v_add_nc_u32_e32 v69, 0x4d, v112
	v_mad_co_u64_u32 v[58:59], null, s16, v73, 0
	v_add_nc_u32_e32 v72, 0xe7, v112
	v_fma_f64 v[16:17], v[22:23], 2.0, -v[30:31]
	v_fma_f64 v[20:21], v[24:25], 2.0, -v[32:33]
	v_fma_f64 v[22:23], v[26:27], 2.0, -v[34:35]
	v_add_f64_e64 v[38:39], v[4:5], -v[12:13]
	v_add_f64_e64 v[0:1], v[8:9], -v[0:1]
	v_fma_f64 v[24:25], v[2:3], 2.0, -v[36:37]
	v_add_f64_e64 v[26:27], v[6:7], -v[14:15]
	v_add_f64_e64 v[18:19], v[10:11], -v[18:19]
	v_mad_co_u64_u32 v[2:3], null, s2, v50, 0
	s_mov_b32 s2, 0x667f3bcd
	s_mov_b32 s3, 0x3fe6a09e
	s_wait_alu 0xfffe
	s_mov_b32 s0, s2
	v_fma_f64 v[12:13], v[34:35], s[2:3], v[30:31]
	v_fma_f64 v[52:53], v[32:33], s[2:3], v[36:37]
	s_delay_alu instid0(VALU_DEP_3)
	v_add3_u32 v3, v3, v65, v64
	s_wait_alu 0xfffe
	v_fma_f64 v[14:15], v[22:23], s[0:1], v[16:17]
	v_fma_f64 v[48:49], v[4:5], 2.0, -v[38:39]
	v_fma_f64 v[4:5], v[8:9], 2.0, -v[0:1]
	v_fma_f64 v[42:43], v[20:21], s[0:1], v[24:25]
	v_fma_f64 v[44:45], v[6:7], 2.0, -v[26:27]
	v_fma_f64 v[46:47], v[10:11], 2.0, -v[18:19]
	v_dual_mov_b32 v6, v29 :: v_dual_mov_b32 v29, v59
	v_mad_co_u64_u32 v[50:51], null, s16, v69, 0
	v_add_nc_u32_e32 v71, 0x9a, v112
	s_delay_alu instid0(VALU_DEP_3) | instskip(SKIP_4) | instid1(VALU_DEP_3)
	v_mad_co_u64_u32 v[66:67], null, s17, v112, v[6:7]
	v_lshlrev_b64_e32 v[67:68], 4, v[2:3]
	v_mad_co_u64_u32 v[56:57], null, s16, v72, 0
	v_mov_b32_e32 v2, v51
	v_mad_co_u64_u32 v[54:55], null, s16, v71, 0
	v_dual_mov_b32 v51, v61 :: v_dual_mov_b32 v6, v57
	s_delay_alu instid0(VALU_DEP_2) | instskip(SKIP_2) | instid1(VALU_DEP_3)
	v_mov_b32_e32 v3, v55
	v_mov_b32_e32 v55, v63
	v_mad_co_u64_u32 v[64:65], null, s16, v76, 0
	v_mad_co_u64_u32 v[69:70], null, s17, v69, v[2:3]
	s_delay_alu instid0(VALU_DEP_2)
	v_mov_b32_e32 v57, v65
	v_fma_f64 v[10:11], v[20:21], s[2:3], v[14:15]
	v_mad_co_u64_u32 v[70:71], null, s17, v71, v[3:4]
	v_fma_f64 v[2:3], v[32:33], s[2:3], v[12:13]
	v_add_f64_e64 v[14:15], v[44:45], -v[46:47]
	v_add_f64_e64 v[12:13], v[48:49], -v[4:5]
	v_mad_co_u64_u32 v[71:72], null, s17, v72, v[6:7]
	v_add_f64_e32 v[6:7], v[26:27], v[0:1]
	v_fma_f64 v[8:9], v[22:23], s[0:1], v[42:43]
	v_add_f64_e64 v[4:5], v[38:39], -v[18:19]
	v_fma_f64 v[0:1], v[34:35], s[0:1], v[52:53]
	v_mad_co_u64_u32 v[18:19], null, s17, v73, v[29:30]
	v_mad_co_u64_u32 v[19:20], null, s17, v74, v[51:52]
	;; [unrolled: 1-line block ×4, first 2 shown]
	v_add_co_u32 v22, vcc_lo, s6, v67
	v_mov_b32_e32 v29, v66
	s_wait_alu 0xfffd
	v_add_co_ci_u32_e32 v23, vcc_lo, s7, v68, vcc_lo
	s_delay_alu instid0(VALU_DEP_3) | instskip(NEXT) | instid1(VALU_DEP_3)
	v_add_co_u32 v52, vcc_lo, v22, v40
	v_lshlrev_b64_e32 v[32:33], 4, v[28:29]
	v_mov_b32_e32 v59, v18
	v_mov_b32_e32 v61, v19
	s_wait_alu 0xfffd
	v_add_co_ci_u32_e32 v53, vcc_lo, v23, v41, vcc_lo
	v_mov_b32_e32 v63, v20
	v_mov_b32_e32 v65, v21
	;; [unrolled: 1-line block ×5, first 2 shown]
	v_add_co_u32 v32, vcc_lo, v52, v32
	s_delay_alu instid0(VALU_DEP_4) | instskip(NEXT) | instid1(VALU_DEP_4)
	v_lshlrev_b64_e32 v[34:35], 4, v[50:51]
	v_lshlrev_b64_e32 v[40:41], 4, v[54:55]
	v_fma_f64 v[18:19], v[30:31], 2.0, -v[2:3]
	v_fma_f64 v[30:31], v[44:45], 2.0, -v[14:15]
	;; [unrolled: 1-line block ×3, first 2 shown]
	s_wait_alu 0xfffd
	v_add_co_ci_u32_e32 v33, vcc_lo, v53, v33, vcc_lo
	v_fma_f64 v[22:23], v[26:27], 2.0, -v[6:7]
	v_fma_f64 v[26:27], v[16:17], 2.0, -v[10:11]
	;; [unrolled: 1-line block ×5, first 2 shown]
	v_lshlrev_b64_e32 v[42:43], 4, v[56:57]
	v_add_co_u32 v34, vcc_lo, v52, v34
	s_wait_alu 0xfffd
	v_add_co_ci_u32_e32 v35, vcc_lo, v53, v35, vcc_lo
	v_lshlrev_b64_e32 v[46:47], 4, v[58:59]
	v_add_co_u32 v40, vcc_lo, v52, v40
	s_wait_alu 0xfffd
	v_add_co_ci_u32_e32 v41, vcc_lo, v53, v41, vcc_lo
	;; [unrolled: 4-line block ×5, first 2 shown]
	v_add_co_u32 v36, vcc_lo, v52, v36
	s_wait_alu 0xfffd
	v_add_co_ci_u32_e32 v37, vcc_lo, v53, v37, vcc_lo
	v_add_co_u32 v38, vcc_lo, v52, v38
	s_wait_alu 0xfffd
	v_add_co_ci_u32_e32 v39, vcc_lo, v53, v39, vcc_lo
	s_clause 0x7
	global_store_b128 v[32:33], v[28:31], off
	global_store_b128 v[34:35], v[24:27], off
	;; [unrolled: 1-line block ×8, first 2 shown]
	s_nop 0
	s_sendmsg sendmsg(MSG_DEALLOC_VGPRS)
	s_endpgm
	.section	.rodata,"a",@progbits
	.p2align	6, 0x0
	.amdhsa_kernel fft_rtc_fwd_len616_factors_11_7_8_wgs_88_tpt_88_dp_op_CI_CI_sbrr_dirReg
		.amdhsa_group_segment_fixed_size 0
		.amdhsa_private_segment_fixed_size 0
		.amdhsa_kernarg_size 104
		.amdhsa_user_sgpr_count 2
		.amdhsa_user_sgpr_dispatch_ptr 0
		.amdhsa_user_sgpr_queue_ptr 0
		.amdhsa_user_sgpr_kernarg_segment_ptr 1
		.amdhsa_user_sgpr_dispatch_id 0
		.amdhsa_user_sgpr_private_segment_size 0
		.amdhsa_wavefront_size32 1
		.amdhsa_uses_dynamic_stack 0
		.amdhsa_enable_private_segment 0
		.amdhsa_system_sgpr_workgroup_id_x 1
		.amdhsa_system_sgpr_workgroup_id_y 0
		.amdhsa_system_sgpr_workgroup_id_z 0
		.amdhsa_system_sgpr_workgroup_info 0
		.amdhsa_system_vgpr_workitem_id 0
		.amdhsa_next_free_vgpr 191
		.amdhsa_next_free_sgpr 43
		.amdhsa_reserve_vcc 1
		.amdhsa_float_round_mode_32 0
		.amdhsa_float_round_mode_16_64 0
		.amdhsa_float_denorm_mode_32 3
		.amdhsa_float_denorm_mode_16_64 3
		.amdhsa_fp16_overflow 0
		.amdhsa_workgroup_processor_mode 1
		.amdhsa_memory_ordered 1
		.amdhsa_forward_progress 0
		.amdhsa_round_robin_scheduling 0
		.amdhsa_exception_fp_ieee_invalid_op 0
		.amdhsa_exception_fp_denorm_src 0
		.amdhsa_exception_fp_ieee_div_zero 0
		.amdhsa_exception_fp_ieee_overflow 0
		.amdhsa_exception_fp_ieee_underflow 0
		.amdhsa_exception_fp_ieee_inexact 0
		.amdhsa_exception_int_div_zero 0
	.end_amdhsa_kernel
	.text
.Lfunc_end0:
	.size	fft_rtc_fwd_len616_factors_11_7_8_wgs_88_tpt_88_dp_op_CI_CI_sbrr_dirReg, .Lfunc_end0-fft_rtc_fwd_len616_factors_11_7_8_wgs_88_tpt_88_dp_op_CI_CI_sbrr_dirReg
                                        ; -- End function
	.section	.AMDGPU.csdata,"",@progbits
; Kernel info:
; codeLenInByte = 7012
; NumSgprs: 45
; NumVgprs: 191
; ScratchSize: 0
; MemoryBound: 1
; FloatMode: 240
; IeeeMode: 1
; LDSByteSize: 0 bytes/workgroup (compile time only)
; SGPRBlocks: 5
; VGPRBlocks: 23
; NumSGPRsForWavesPerEU: 45
; NumVGPRsForWavesPerEU: 191
; Occupancy: 8
; WaveLimiterHint : 1
; COMPUTE_PGM_RSRC2:SCRATCH_EN: 0
; COMPUTE_PGM_RSRC2:USER_SGPR: 2
; COMPUTE_PGM_RSRC2:TRAP_HANDLER: 0
; COMPUTE_PGM_RSRC2:TGID_X_EN: 1
; COMPUTE_PGM_RSRC2:TGID_Y_EN: 0
; COMPUTE_PGM_RSRC2:TGID_Z_EN: 0
; COMPUTE_PGM_RSRC2:TIDIG_COMP_CNT: 0
	.text
	.p2alignl 7, 3214868480
	.fill 96, 4, 3214868480
	.type	__hip_cuid_5958a7f686b1b7e4,@object ; @__hip_cuid_5958a7f686b1b7e4
	.section	.bss,"aw",@nobits
	.globl	__hip_cuid_5958a7f686b1b7e4
__hip_cuid_5958a7f686b1b7e4:
	.byte	0                               ; 0x0
	.size	__hip_cuid_5958a7f686b1b7e4, 1

	.ident	"AMD clang version 19.0.0git (https://github.com/RadeonOpenCompute/llvm-project roc-6.4.0 25133 c7fe45cf4b819c5991fe208aaa96edf142730f1d)"
	.section	".note.GNU-stack","",@progbits
	.addrsig
	.addrsig_sym __hip_cuid_5958a7f686b1b7e4
	.amdgpu_metadata
---
amdhsa.kernels:
  - .args:
      - .actual_access:  read_only
        .address_space:  global
        .offset:         0
        .size:           8
        .value_kind:     global_buffer
      - .offset:         8
        .size:           8
        .value_kind:     by_value
      - .actual_access:  read_only
        .address_space:  global
        .offset:         16
        .size:           8
        .value_kind:     global_buffer
      - .actual_access:  read_only
        .address_space:  global
        .offset:         24
        .size:           8
        .value_kind:     global_buffer
      - .actual_access:  read_only
        .address_space:  global
        .offset:         32
        .size:           8
        .value_kind:     global_buffer
      - .offset:         40
        .size:           8
        .value_kind:     by_value
      - .actual_access:  read_only
        .address_space:  global
        .offset:         48
        .size:           8
        .value_kind:     global_buffer
      - .actual_access:  read_only
        .address_space:  global
        .offset:         56
        .size:           8
        .value_kind:     global_buffer
      - .offset:         64
        .size:           4
        .value_kind:     by_value
      - .actual_access:  read_only
        .address_space:  global
        .offset:         72
        .size:           8
        .value_kind:     global_buffer
      - .actual_access:  read_only
        .address_space:  global
        .offset:         80
        .size:           8
        .value_kind:     global_buffer
      - .actual_access:  read_only
        .address_space:  global
        .offset:         88
        .size:           8
        .value_kind:     global_buffer
      - .actual_access:  write_only
        .address_space:  global
        .offset:         96
        .size:           8
        .value_kind:     global_buffer
    .group_segment_fixed_size: 0
    .kernarg_segment_align: 8
    .kernarg_segment_size: 104
    .language:       OpenCL C
    .language_version:
      - 2
      - 0
    .max_flat_workgroup_size: 88
    .name:           fft_rtc_fwd_len616_factors_11_7_8_wgs_88_tpt_88_dp_op_CI_CI_sbrr_dirReg
    .private_segment_fixed_size: 0
    .sgpr_count:     45
    .sgpr_spill_count: 0
    .symbol:         fft_rtc_fwd_len616_factors_11_7_8_wgs_88_tpt_88_dp_op_CI_CI_sbrr_dirReg.kd
    .uniform_work_group_size: 1
    .uses_dynamic_stack: false
    .vgpr_count:     191
    .vgpr_spill_count: 0
    .wavefront_size: 32
    .workgroup_processor_mode: 1
amdhsa.target:   amdgcn-amd-amdhsa--gfx1201
amdhsa.version:
  - 1
  - 2
...

	.end_amdgpu_metadata
